;; amdgpu-corpus repo=ROCm/rocFFT kind=compiled arch=gfx950 opt=O3
	.text
	.amdgcn_target "amdgcn-amd-amdhsa--gfx950"
	.amdhsa_code_object_version 6
	.protected	fft_rtc_fwd_len88_factors_11_8_wgs_121_tpt_11_halfLds_half_ip_CI_unitstride_sbrr_R2C_dirReg ; -- Begin function fft_rtc_fwd_len88_factors_11_8_wgs_121_tpt_11_halfLds_half_ip_CI_unitstride_sbrr_R2C_dirReg
	.globl	fft_rtc_fwd_len88_factors_11_8_wgs_121_tpt_11_halfLds_half_ip_CI_unitstride_sbrr_R2C_dirReg
	.p2align	8
	.type	fft_rtc_fwd_len88_factors_11_8_wgs_121_tpt_11_halfLds_half_ip_CI_unitstride_sbrr_R2C_dirReg,@function
fft_rtc_fwd_len88_factors_11_8_wgs_121_tpt_11_halfLds_half_ip_CI_unitstride_sbrr_R2C_dirReg: ; @fft_rtc_fwd_len88_factors_11_8_wgs_121_tpt_11_halfLds_half_ip_CI_unitstride_sbrr_R2C_dirReg
; %bb.0:
	s_load_dwordx2 s[8:9], s[0:1], 0x50
	s_load_dwordx4 s[4:7], s[0:1], 0x0
	s_load_dwordx2 s[10:11], s[0:1], 0x18
	v_mul_u32_u24_e32 v1, 0x1746, v0
	v_lshrrev_b32_e32 v2, 16, v1
	v_mad_u64_u32 v[2:3], s[2:3], s2, 11, v[2:3]
	v_mov_b32_e32 v6, 0
	v_mov_b32_e32 v3, v6
	s_waitcnt lgkmcnt(0)
	v_cmp_lt_u64_e64 s[2:3], s[6:7], 2
	s_and_b64 vcc, exec, s[2:3]
	v_mov_b64_e32 v[4:5], 0
	v_mov_b64_e32 v[10:11], v[2:3]
	s_cbranch_vccnz .LBB0_8
; %bb.1:
	s_load_dwordx2 s[2:3], s[0:1], 0x10
	s_add_u32 s12, s10, 8
	s_addc_u32 s13, s11, 0
	s_mov_b64 s[14:15], 1
	v_mov_b64_e32 v[4:5], 0
	s_waitcnt lgkmcnt(0)
	s_add_u32 s16, s2, 8
	s_addc_u32 s17, s3, 0
	v_mov_b64_e32 v[8:9], v[2:3]
.LBB0_2:                                ; =>This Inner Loop Header: Depth=1
	s_load_dwordx2 s[18:19], s[16:17], 0x0
                                        ; implicit-def: $vgpr10_vgpr11
	s_waitcnt lgkmcnt(0)
	v_or_b32_e32 v7, s19, v9
	v_cmp_ne_u64_e32 vcc, 0, v[6:7]
	s_and_saveexec_b64 s[2:3], vcc
	s_xor_b64 s[20:21], exec, s[2:3]
	s_cbranch_execz .LBB0_4
; %bb.3:                                ;   in Loop: Header=BB0_2 Depth=1
	v_cvt_f32_u32_e32 v1, s18
	v_cvt_f32_u32_e32 v3, s19
	s_sub_u32 s2, 0, s18
	s_subb_u32 s3, 0, s19
	v_fmac_f32_e32 v1, 0x4f800000, v3
	v_rcp_f32_e32 v1, v1
	s_nop 0
	v_mul_f32_e32 v1, 0x5f7ffffc, v1
	v_mul_f32_e32 v3, 0x2f800000, v1
	v_trunc_f32_e32 v3, v3
	v_fmac_f32_e32 v1, 0xcf800000, v3
	v_cvt_u32_f32_e32 v3, v3
	v_cvt_u32_f32_e32 v1, v1
	v_mul_lo_u32 v7, s2, v3
	v_mul_hi_u32 v10, s2, v1
	v_mul_lo_u32 v11, s3, v1
	v_add_u32_e32 v7, v10, v7
	v_mul_lo_u32 v14, s2, v1
	v_add_u32_e32 v7, v7, v11
	v_mul_hi_u32 v10, v1, v14
	v_mul_hi_u32 v13, v1, v7
	v_mul_lo_u32 v12, v1, v7
	v_mov_b32_e32 v11, v6
	v_lshl_add_u64 v[10:11], v[10:11], 0, v[12:13]
	v_mul_hi_u32 v13, v3, v14
	v_mul_lo_u32 v14, v3, v14
	v_add_co_u32_e32 v10, vcc, v10, v14
	v_mul_hi_u32 v12, v3, v7
	s_nop 0
	v_addc_co_u32_e32 v10, vcc, v11, v13, vcc
	v_mov_b32_e32 v11, v6
	s_nop 0
	v_addc_co_u32_e32 v13, vcc, 0, v12, vcc
	v_mul_lo_u32 v12, v3, v7
	v_lshl_add_u64 v[10:11], v[10:11], 0, v[12:13]
	v_add_co_u32_e32 v1, vcc, v1, v10
	v_mul_hi_u32 v10, s2, v1
	s_nop 0
	v_addc_co_u32_e32 v3, vcc, v3, v11, vcc
	v_mul_lo_u32 v7, s2, v3
	v_add_u32_e32 v7, v10, v7
	v_mul_lo_u32 v10, s3, v1
	v_add_u32_e32 v7, v7, v10
	v_mul_lo_u32 v12, s2, v1
	v_mul_hi_u32 v15, v3, v12
	v_mul_lo_u32 v16, v3, v12
	v_mul_hi_u32 v11, v1, v7
	;; [unrolled: 2-line block ×3, first 2 shown]
	v_mov_b32_e32 v13, v6
	v_lshl_add_u64 v[10:11], v[12:13], 0, v[10:11]
	v_add_co_u32_e32 v10, vcc, v10, v16
	v_mul_hi_u32 v14, v3, v7
	s_nop 0
	v_addc_co_u32_e32 v10, vcc, v11, v15, vcc
	v_mul_lo_u32 v12, v3, v7
	s_nop 0
	v_addc_co_u32_e32 v13, vcc, 0, v14, vcc
	v_mov_b32_e32 v11, v6
	v_lshl_add_u64 v[10:11], v[10:11], 0, v[12:13]
	v_add_co_u32_e32 v1, vcc, v1, v10
	v_mul_hi_u32 v12, v8, v1
	s_nop 0
	v_addc_co_u32_e32 v3, vcc, v3, v11, vcc
	v_mad_u64_u32 v[10:11], s[2:3], v8, v3, 0
	v_mov_b32_e32 v13, v6
	v_lshl_add_u64 v[10:11], v[12:13], 0, v[10:11]
	v_mad_u64_u32 v[14:15], s[2:3], v9, v1, 0
	v_add_co_u32_e32 v1, vcc, v10, v14
	v_mad_u64_u32 v[12:13], s[2:3], v9, v3, 0
	s_nop 0
	v_addc_co_u32_e32 v10, vcc, v11, v15, vcc
	v_mov_b32_e32 v11, v6
	s_nop 0
	v_addc_co_u32_e32 v13, vcc, 0, v13, vcc
	v_lshl_add_u64 v[10:11], v[10:11], 0, v[12:13]
	v_mul_lo_u32 v1, s19, v10
	v_mul_lo_u32 v3, s18, v11
	v_mad_u64_u32 v[12:13], s[2:3], s18, v10, 0
	v_add3_u32 v1, v13, v3, v1
	v_sub_u32_e32 v3, v9, v1
	v_mov_b32_e32 v7, s19
	v_sub_co_u32_e32 v16, vcc, v8, v12
	v_lshl_add_u64 v[14:15], v[10:11], 0, 1
	s_nop 0
	v_subb_co_u32_e64 v3, s[2:3], v3, v7, vcc
	v_subrev_co_u32_e64 v7, s[2:3], s18, v16
	v_subb_co_u32_e32 v1, vcc, v9, v1, vcc
	s_nop 0
	v_subbrev_co_u32_e64 v3, s[2:3], 0, v3, s[2:3]
	v_cmp_le_u32_e64 s[2:3], s19, v3
	v_cmp_le_u32_e32 vcc, s19, v1
	s_nop 0
	v_cndmask_b32_e64 v12, 0, -1, s[2:3]
	v_cmp_le_u32_e64 s[2:3], s18, v7
	s_nop 1
	v_cndmask_b32_e64 v7, 0, -1, s[2:3]
	v_cmp_eq_u32_e64 s[2:3], s19, v3
	s_nop 1
	v_cndmask_b32_e64 v3, v12, v7, s[2:3]
	v_lshl_add_u64 v[12:13], v[10:11], 0, 2
	v_cmp_ne_u32_e64 s[2:3], 0, v3
	v_cndmask_b32_e64 v7, 0, -1, vcc
	v_cmp_le_u32_e32 vcc, s18, v16
	v_cndmask_b32_e64 v3, v15, v13, s[2:3]
	s_nop 0
	v_cndmask_b32_e64 v13, 0, -1, vcc
	v_cmp_eq_u32_e32 vcc, s19, v1
	s_nop 1
	v_cndmask_b32_e32 v1, v7, v13, vcc
	v_cmp_ne_u32_e32 vcc, 0, v1
	v_cndmask_b32_e64 v1, v14, v12, s[2:3]
	s_nop 0
	v_cndmask_b32_e32 v11, v11, v3, vcc
	v_cndmask_b32_e32 v10, v10, v1, vcc
.LBB0_4:                                ;   in Loop: Header=BB0_2 Depth=1
	s_andn2_saveexec_b64 s[2:3], s[20:21]
	s_cbranch_execz .LBB0_6
; %bb.5:                                ;   in Loop: Header=BB0_2 Depth=1
	v_cvt_f32_u32_e32 v1, s18
	s_sub_i32 s20, 0, s18
	v_mov_b32_e32 v11, v6
	v_rcp_iflag_f32_e32 v1, v1
	s_nop 0
	v_mul_f32_e32 v1, 0x4f7ffffe, v1
	v_cvt_u32_f32_e32 v1, v1
	v_mul_lo_u32 v3, s20, v1
	v_mul_hi_u32 v3, v1, v3
	v_add_u32_e32 v1, v1, v3
	v_mul_hi_u32 v1, v8, v1
	v_mul_lo_u32 v3, v1, s18
	v_sub_u32_e32 v3, v8, v3
	v_add_u32_e32 v7, 1, v1
	v_subrev_u32_e32 v10, s18, v3
	v_cmp_le_u32_e32 vcc, s18, v3
	s_nop 1
	v_cndmask_b32_e32 v3, v3, v10, vcc
	v_cndmask_b32_e32 v1, v1, v7, vcc
	v_add_u32_e32 v7, 1, v1
	v_cmp_le_u32_e32 vcc, s18, v3
	s_nop 1
	v_cndmask_b32_e32 v10, v1, v7, vcc
.LBB0_6:                                ;   in Loop: Header=BB0_2 Depth=1
	s_or_b64 exec, exec, s[2:3]
	v_mad_u64_u32 v[12:13], s[2:3], v10, s18, 0
	s_load_dwordx2 s[2:3], s[12:13], 0x0
	s_add_u32 s14, s14, 1
	v_mul_lo_u32 v1, v11, s18
	v_mul_lo_u32 v3, v10, s19
	s_addc_u32 s15, s15, 0
	v_add3_u32 v1, v13, v3, v1
	v_sub_co_u32_e32 v3, vcc, v8, v12
	s_add_u32 s12, s12, 8
	s_nop 0
	v_subb_co_u32_e32 v1, vcc, v9, v1, vcc
	s_addc_u32 s13, s13, 0
	v_mov_b64_e32 v[8:9], s[6:7]
	s_waitcnt lgkmcnt(0)
	v_mul_lo_u32 v1, s2, v1
	v_mul_lo_u32 v7, s3, v3
	v_mad_u64_u32 v[4:5], s[2:3], s2, v3, v[4:5]
	s_add_u32 s16, s16, 8
	v_cmp_ge_u64_e32 vcc, s[14:15], v[8:9]
	v_add3_u32 v5, v7, v5, v1
	s_addc_u32 s17, s17, 0
	s_cbranch_vccnz .LBB0_8
; %bb.7:                                ;   in Loop: Header=BB0_2 Depth=1
	v_mov_b64_e32 v[8:9], v[10:11]
	s_branch .LBB0_2
.LBB0_8:
	s_lshl_b64 s[2:3], s[6:7], 3
	s_add_u32 s2, s10, s2
	s_addc_u32 s3, s11, s3
	s_load_dwordx2 s[6:7], s[2:3], 0x0
	s_load_dwordx2 s[10:11], s[0:1], 0x20
	s_waitcnt lgkmcnt(0)
	v_mad_u64_u32 v[4:5], s[0:1], s6, v10, v[4:5]
	v_mul_lo_u32 v1, s6, v11
	v_mul_lo_u32 v3, s7, v10
	s_mov_b32 s0, 0xba2e8ba3
	v_add3_u32 v5, v3, v5, v1
	v_mul_hi_u32 v1, v2, s0
	v_lshrrev_b32_e32 v1, 3, v1
	v_mul_lo_u32 v1, v1, 11
	v_sub_u32_e32 v1, v2, v1
	s_mov_b32 s0, 0x1745d175
	v_mul_u32_u24_e32 v3, 0x59, v1
	v_mul_hi_u32 v1, v0, s0
	v_mul_u32_u24_e32 v1, 11, v1
	v_sub_u32_e32 v2, v0, v1
	v_cmp_gt_u64_e32 vcc, s[10:11], v[10:11]
	v_lshl_add_u64 v[0:1], v[4:5], 2, s[8:9]
	v_lshlrev_b32_e32 v17, 2, v3
	v_lshlrev_b32_e32 v15, 2, v2
	s_and_saveexec_b64 s[0:1], vcc
	s_cbranch_execz .LBB0_10
; %bb.9:
	v_mov_b32_e32 v3, 0
	v_lshl_add_u64 v[4:5], v[2:3], 2, v[0:1]
	global_load_dword v3, v[4:5], off
	global_load_dword v6, v[4:5], off offset:44
	global_load_dword v7, v[4:5], off offset:88
	;; [unrolled: 1-line block ×7, first 2 shown]
	v_add3_u32 v4, 0, v17, v15
	s_waitcnt vmcnt(6)
	ds_write2_b32 v4, v3, v6 offset1:11
	s_waitcnt vmcnt(4)
	ds_write2_b32 v4, v7, v8 offset0:22 offset1:33
	s_waitcnt vmcnt(2)
	ds_write2_b32 v4, v9, v10 offset0:44 offset1:55
	;; [unrolled: 2-line block ×3, first 2 shown]
.LBB0_10:
	s_or_b64 exec, exec, s[0:1]
	v_add_u32_e32 v3, 0, v17
	v_add_u32_e32 v18, 0, v15
	;; [unrolled: 1-line block ×4, first 2 shown]
	s_waitcnt lgkmcnt(0)
	s_barrier
	ds_read_b32 v19, v14
	ds_read2_b32 v[12:13], v16 offset0:8 offset1:16
	ds_read2_b32 v[10:11], v16 offset0:24 offset1:32
	;; [unrolled: 1-line block ×5, first 2 shown]
	v_cmp_gt_u32_e64 s[0:1], 8, v2
	s_waitcnt lgkmcnt(0)
	s_barrier
	s_and_saveexec_b64 s[2:3], s[0:1]
	s_cbranch_execz .LBB0_12
; %bb.11:
	v_add_f16_sdwa v20, v5, v12 dst_sel:DWORD dst_unused:UNUSED_PAD src0_sel:WORD_1 src1_sel:WORD_1
	v_mul_f16_e32 v21, 0xb93d, v20
	v_sub_f16_e32 v22, v12, v5
	s_movk_i32 s9, 0x3a0c
	v_add_f16_sdwa v24, v4, v13 dst_sel:DWORD dst_unused:UNUSED_PAD src0_sel:WORD_1 src1_sel:WORD_1
	v_fma_f16 v23, v22, s9, v21
	v_mul_f16_e32 v25, 0xb08e, v24
	v_sub_f16_e32 v26, v13, v4
	s_mov_b32 s10, 0xbbeb
	v_add_f16_sdwa v23, v19, v23 dst_sel:DWORD dst_unused:UNUSED_PAD src0_sel:WORD_1 src1_sel:DWORD
	v_fma_f16 v27, v26, s10, v25
	v_add_f16_e32 v23, v27, v23
	v_add_f16_sdwa v27, v7, v10 dst_sel:DWORD dst_unused:UNUSED_PAD src0_sel:WORD_1 src1_sel:WORD_1
	v_mul_f16_e32 v28, 0x3abb, v27
	v_sub_f16_e32 v29, v10, v7
	s_movk_i32 s11, 0x3853
	v_fma_f16 v30, v29, s11, v28
	v_add_f16_e32 v23, v30, v23
	v_add_f16_sdwa v30, v6, v11 dst_sel:DWORD dst_unused:UNUSED_PAD src0_sel:WORD_1 src1_sel:WORD_1
	v_mul_f16_e32 v31, 0xbbad, v30
	v_sub_f16_e32 v32, v11, v6
	s_movk_i32 s12, 0x3482
	v_fma_f16 v33, v32, s12, v31
	v_add_f16_e32 v23, v33, v23
	v_add_f16_sdwa v33, v9, v8 dst_sel:DWORD dst_unused:UNUSED_PAD src0_sel:WORD_1 src1_sel:WORD_1
	v_mul_f16_e32 v34, 0x36a6, v33
	v_sub_f16_e32 v35, v8, v9
	s_mov_b32 s13, 0xbb47
	v_fma_f16 v36, v35, s13, v34
	v_sub_f16_sdwa v37, v12, v5 dst_sel:DWORD dst_unused:UNUSED_PAD src0_sel:WORD_1 src1_sel:WORD_1
	s_mov_b32 s0, 0xb93d
	v_add_f16_e32 v23, v36, v23
	v_add_f16_e32 v36, v5, v12
	v_mul_f16_e32 v38, 0xba0c, v37
	v_sub_f16_sdwa v41, v13, v4 dst_sel:DWORD dst_unused:UNUSED_PAD src0_sel:WORD_1 src1_sel:WORD_1
	s_mov_b32 s1, 0xb08e
	v_fma_f16 v39, v36, s0, v38
	v_add_f16_e32 v40, v4, v13
	v_mul_f16_e32 v42, 0x3beb, v41
	v_add_f16_e32 v39, v19, v39
	v_fma_f16 v43, v40, s1, v42
	v_sub_f16_sdwa v44, v10, v7 dst_sel:DWORD dst_unused:UNUSED_PAD src0_sel:WORD_1 src1_sel:WORD_1
	s_movk_i32 s7, 0x3abb
	v_add_f16_e32 v39, v43, v39
	v_add_f16_e32 v43, v7, v10
	v_mul_f16_e32 v45, 0xb853, v44
	v_fma_f16 v46, v43, s7, v45
	v_sub_f16_sdwa v47, v11, v6 dst_sel:DWORD dst_unused:UNUSED_PAD src0_sel:WORD_1 src1_sel:WORD_1
	s_mov_b32 s6, 0xbbad
	v_add_f16_e32 v39, v46, v39
	v_add_f16_e32 v46, v6, v11
	v_mul_f16_e32 v48, 0xb482, v47
	v_fma_f16 v49, v46, s6, v48
	v_sub_f16_sdwa v50, v8, v9 dst_sel:DWORD dst_unused:UNUSED_PAD src0_sel:WORD_1 src1_sel:WORD_1
	s_movk_i32 s8, 0x36a6
	v_add_f16_e32 v39, v49, v39
	v_add_f16_e32 v49, v9, v8
	v_mul_f16_e32 v51, 0x3b47, v50
	v_fma_f16 v52, v49, s8, v51
	s_mov_b32 s15, 0xb853
	v_add_f16_e32 v39, v52, v39
	v_mul_f16_e32 v52, 0xbbad, v20
	v_mul_f16_e32 v54, 0x3abb, v24
	v_fma_f16 v53, v22, s12, v52
	v_fma_f16 v55, v26, s15, v54
	;; [unrolled: 1-line block ×3, first 2 shown]
	s_mov_b32 s11, 0xba0c
	s_movk_i32 s14, 0x3beb
	v_add_f16_sdwa v53, v19, v53 dst_sel:DWORD dst_unused:UNUSED_PAD src0_sel:WORD_1 src1_sel:DWORD
	v_fma_f16 v21, v22, s11, v21
	v_add_f16_e32 v53, v55, v53
	v_mul_f16_e32 v55, 0xb93d, v27
	v_add_f16_sdwa v21, v19, v21 dst_sel:DWORD dst_unused:UNUSED_PAD src0_sel:WORD_1 src1_sel:DWORD
	v_fma_f16 v25, v26, s14, v25
	v_fma_f16 v56, v29, s9, v55
	s_mov_b32 s9, 0xb482
	v_add_f16_e32 v21, v25, v21
	v_fma_f16 v25, v29, s15, v28
	s_movk_i32 s12, 0x3b47
	v_add_f16_e32 v21, v25, v21
	v_fma_f16 v25, v32, s9, v31
	v_add_f16_e32 v53, v56, v53
	v_mul_f16_e32 v56, 0x36a6, v30
	v_add_f16_e32 v21, v25, v21
	v_fma_f16 v25, v35, s12, v34
	v_fma_f16 v57, v32, s13, v56
	v_add_f16_e32 v21, v25, v21
	v_fma_f16 v25, v36, s0, -v38
	v_add_f16_e32 v53, v57, v53
	v_mul_f16_e32 v57, 0xb08e, v33
	v_add_f16_e32 v25, v19, v25
	v_fma_f16 v28, v40, s1, -v42
	v_fma_f16 v58, v35, s14, v57
	v_fma_f16 v52, v22, s9, v52
	v_add_f16_e32 v25, v28, v25
	v_fma_f16 v28, v43, s7, -v45
	v_add_f16_e32 v53, v58, v53
	v_mul_f16_e32 v58, 0xb482, v37
	v_add_f16_sdwa v52, v19, v52 dst_sel:DWORD dst_unused:UNUSED_PAD src0_sel:WORD_1 src1_sel:DWORD
	v_add_f16_e32 v25, v28, v25
	v_fma_f16 v28, v46, s6, -v48
	v_fma_f16 v59, v36, s6, v58
	v_mul_f16_e32 v60, 0x3853, v41
	v_add_f16_e32 v52, v54, v52
	v_fma_f16 v54, v29, s11, v55
	v_add_f16_e32 v25, v28, v25
	v_fma_f16 v28, v49, s8, -v51
	v_add_f16_e32 v59, v19, v59
	v_fma_f16 v61, v40, s7, v60
	v_add_f16_e32 v52, v54, v52
	v_fma_f16 v54, v32, s12, v56
	v_add_f16_e32 v25, v28, v25
	v_mul_f16_e32 v28, 0xbbeb, v22
	v_add_f16_e32 v59, v61, v59
	v_mul_f16_e32 v61, 0xba0c, v44
	v_add_f16_e32 v52, v54, v52
	v_fma_f16 v54, v35, s10, v57
	v_fma_f16 v31, v20, s1, v28
	v_mul_f16_e32 v34, 0x3482, v26
	v_fma_f16 v62, v43, s0, v61
	v_add_f16_e32 v52, v54, v52
	v_fma_f16 v54, v36, s6, -v58
	v_add_f16_sdwa v31, v19, v31 dst_sel:DWORD dst_unused:UNUSED_PAD src0_sel:WORD_1 src1_sel:DWORD
	v_fma_f16 v38, v24, s6, v34
	v_add_f16_e32 v59, v62, v59
	v_mul_f16_e32 v62, 0x3b47, v47
	v_add_f16_e32 v54, v19, v54
	v_fma_f16 v55, v40, s7, -v60
	v_add_f16_e32 v31, v38, v31
	v_mul_f16_e32 v38, 0x3b47, v29
	v_fma_f16 v63, v46, s8, v62
	v_add_f16_e32 v54, v55, v54
	v_fma_f16 v55, v43, s0, -v61
	v_fma_f16 v42, v27, s8, v38
	v_add_f16_e32 v59, v63, v59
	v_mul_f16_e32 v63, 0xbbeb, v50
	v_add_f16_e32 v54, v55, v54
	v_fma_f16 v55, v46, s8, -v62
	v_add_f16_e32 v31, v42, v31
	v_mul_f16_e32 v42, 0xb853, v32
	v_add_f16_e32 v54, v55, v54
	v_fma_f16 v55, v49, s1, -v63
	v_fma_f16 v45, v30, s7, v42
	v_add_f16_e32 v54, v55, v54
	v_add_f16_e32 v31, v45, v31
	v_mul_f16_e32 v45, 0xba0c, v35
	v_add_f16_e32 v55, v19, v12
	v_add_f16_sdwa v12, v19, v12 dst_sel:DWORD dst_unused:UNUSED_PAD src0_sel:WORD_1 src1_sel:WORD_1
	v_fma_f16 v48, v33, s0, v45
	v_add_f16_e32 v55, v55, v13
	v_add_f16_sdwa v12, v12, v13 dst_sel:DWORD dst_unused:UNUSED_PAD src0_sel:DWORD src1_sel:WORD_1
	v_add_f16_e32 v31, v48, v31
	v_mul_f16_e32 v48, 0xbbeb, v37
	v_add_f16_e32 v55, v55, v10
	v_add_f16_sdwa v10, v12, v10 dst_sel:DWORD dst_unused:UNUSED_PAD src0_sel:DWORD src1_sel:WORD_1
	v_fma_f16 v51, v36, s1, -v48
	v_mul_f16_e32 v13, 0x3482, v41
	v_add_f16_e32 v55, v55, v11
	v_add_f16_sdwa v10, v10, v11 dst_sel:DWORD dst_unused:UNUSED_PAD src0_sel:DWORD src1_sel:WORD_1
	v_add_f16_e32 v51, v19, v51
	v_fma_f16 v56, v40, s6, -v13
	v_add_f16_e32 v55, v55, v8
	v_add_f16_sdwa v8, v10, v8 dst_sel:DWORD dst_unused:UNUSED_PAD src0_sel:DWORD src1_sel:WORD_1
	v_add_f16_e32 v51, v56, v51
	v_mul_f16_e32 v56, 0x3b47, v44
	v_add_f16_e32 v55, v55, v9
	v_add_f16_sdwa v8, v8, v9 dst_sel:DWORD dst_unused:UNUSED_PAD src0_sel:DWORD src1_sel:WORD_1
	v_fma_f16 v57, v43, s8, -v56
	v_mul_f16_e32 v11, 0xb853, v47
	v_mul_f16_e32 v9, 0xbb47, v22
	v_add_f16_e32 v55, v55, v6
	v_add_f16_sdwa v6, v8, v6 dst_sel:DWORD dst_unused:UNUSED_PAD src0_sel:DWORD src1_sel:WORD_1
	v_add_f16_e32 v51, v57, v51
	v_fma_f16 v12, v46, s7, -v11
	v_fma_f16 v10, v20, s8, v9
	v_add_f16_e32 v55, v55, v7
	v_add_f16_sdwa v6, v6, v7 dst_sel:DWORD dst_unused:UNUSED_PAD src0_sel:DWORD src1_sel:WORD_1
	v_mul_f16_e32 v7, 0xba0c, v26
	v_add_f16_e32 v12, v12, v51
	v_mul_f16_e32 v51, 0xba0c, v50
	v_add_f16_sdwa v10, v19, v10 dst_sel:DWORD dst_unused:UNUSED_PAD src0_sel:WORD_1 src1_sel:DWORD
	v_fma_f16 v8, v24, s0, v7
	v_fma_f16 v57, v49, s0, -v51
	v_add_f16_e32 v8, v8, v10
	v_mul_f16_e32 v10, 0x3482, v29
	v_add_f16_e32 v55, v55, v4
	v_add_f16_sdwa v4, v6, v4 dst_sel:DWORD dst_unused:UNUSED_PAD src0_sel:DWORD src1_sel:WORD_1
	v_add_f16_e32 v12, v57, v12
	v_fma_f16 v57, v27, s6, v10
	v_add_f16_e32 v55, v55, v5
	v_add_f16_sdwa v4, v4, v5 dst_sel:DWORD dst_unused:UNUSED_PAD src0_sel:DWORD src1_sel:WORD_1
	v_mul_f16_e32 v5, 0x3beb, v32
	v_add_f16_e32 v8, v57, v8
	v_fma_f16 v6, v30, s1, v5
	v_add_f16_e32 v6, v6, v8
	v_mul_f16_e32 v8, 0x3853, v35
	v_fma_f16 v57, v33, s7, v8
	v_fma_f16 v9, v20, s8, -v9
	v_add_f16_e32 v6, v57, v6
	v_mul_f16_e32 v57, 0xbb47, v37
	v_add_f16_sdwa v9, v19, v9 dst_sel:DWORD dst_unused:UNUSED_PAD src0_sel:WORD_1 src1_sel:DWORD
	v_fma_f16 v7, v24, s0, -v7
	v_fma_f16 v58, v36, s8, -v57
	v_mul_f16_e32 v60, 0xba0c, v41
	v_add_f16_e32 v7, v7, v9
	v_fma_f16 v9, v27, s6, -v10
	v_add_f16_e32 v58, v19, v58
	v_fma_f16 v61, v40, s0, -v60
	;; [unrolled: 2-line block ×3, first 2 shown]
	v_add_f16_e32 v58, v61, v58
	v_mul_f16_e32 v61, 0x3482, v44
	v_add_f16_e32 v5, v5, v7
	v_fma_f16 v7, v33, s7, -v8
	v_fma_f16 v62, v43, s6, -v61
	v_add_f16_e32 v5, v7, v5
	v_fma_f16 v7, v36, s8, v57
	v_add_f16_e32 v58, v62, v58
	v_mul_f16_e32 v62, 0x3beb, v47
	v_add_f16_e32 v7, v19, v7
	v_fma_f16 v8, v40, s0, v60
	v_fma_f16 v64, v49, s1, v63
	v_fma_f16 v63, v46, s1, -v62
	v_add_f16_e32 v7, v8, v7
	v_fma_f16 v8, v43, s6, v61
	v_add_f16_e32 v58, v63, v58
	v_mul_f16_e32 v63, 0x3853, v50
	v_add_f16_e32 v7, v8, v7
	v_fma_f16 v8, v46, s1, v62
	v_add_f16_e32 v59, v64, v59
	v_fma_f16 v64, v49, s7, -v63
	v_mul_f16_e32 v22, 0xb853, v22
	v_add_f16_e32 v7, v8, v7
	v_fma_f16 v8, v49, s7, v63
	v_add_f16_e32 v58, v64, v58
	v_fma_f16 v64, v20, s7, v22
	v_mul_f16_e32 v26, 0xbb47, v26
	v_add_f16_e32 v7, v8, v7
	v_fma_f16 v8, v20, s7, -v22
	v_add_f16_sdwa v64, v19, v64 dst_sel:DWORD dst_unused:UNUSED_PAD src0_sel:WORD_1 src1_sel:DWORD
	v_fma_f16 v65, v24, s8, v26
	v_mul_f16_e32 v29, 0xbbeb, v29
	v_fma_f16 v28, v20, s1, -v28
	v_add_f16_sdwa v8, v19, v8 dst_sel:DWORD dst_unused:UNUSED_PAD src0_sel:WORD_1 src1_sel:DWORD
	v_fma_f16 v9, v24, s8, -v26
	v_add_f16_e32 v64, v65, v64
	v_fma_f16 v65, v27, s1, v29
	v_mul_f16_e32 v32, 0xba0c, v32
	v_add_f16_sdwa v28, v19, v28 dst_sel:DWORD dst_unused:UNUSED_PAD src0_sel:WORD_1 src1_sel:DWORD
	v_fma_f16 v34, v24, s6, -v34
	v_add_f16_e32 v8, v9, v8
	v_fma_f16 v9, v27, s1, -v29
	v_add_f16_e32 v64, v65, v64
	v_fma_f16 v65, v30, s0, v32
	v_mul_f16_e32 v35, 0xb482, v35
	v_add_f16_e32 v28, v34, v28
	v_fma_f16 v34, v27, s8, -v38
	v_add_f16_e32 v8, v9, v8
	v_fma_f16 v9, v30, s0, -v32
	v_add_f16_e32 v64, v65, v64
	v_fma_f16 v65, v33, s6, v35
	v_mul_f16_e32 v37, 0xb853, v37
	v_add_f16_e32 v28, v34, v28
	v_fma_f16 v34, v30, s7, -v42
	v_add_f16_e32 v8, v9, v8
	v_fma_f16 v9, v33, s6, -v35
	;; [unrolled: 2-line block ×3, first 2 shown]
	v_mul_f16_e32 v41, 0xbb47, v41
	v_add_f16_e32 v28, v34, v28
	v_fma_f16 v34, v33, s0, -v45
	v_add_f16_e32 v8, v9, v8
	v_fma_f16 v9, v36, s7, v37
	v_add_f16_e32 v65, v19, v65
	v_fma_f16 v66, v40, s8, -v41
	v_mul_f16_e32 v44, 0xbbeb, v44
	v_add_f16_e32 v28, v34, v28
	v_fma_f16 v34, v36, s1, v48
	v_add_f16_e32 v9, v19, v9
	v_fma_f16 v10, v40, s8, v41
	v_add_f16_e32 v65, v66, v65
	v_fma_f16 v66, v43, s1, -v44
	v_mul_f16_e32 v47, 0xba0c, v47
	v_add_f16_e32 v34, v19, v34
	v_fma_f16 v13, v40, s6, v13
	;; [unrolled: 7-line block ×3, first 2 shown]
	v_add_f16_e32 v9, v10, v9
	v_fma_f16 v10, v46, s0, v47
	v_add_f16_e32 v65, v66, v65
	v_fma_f16 v66, v49, s6, -v50
	v_add_f16_e32 v13, v34, v13
	v_fma_f16 v11, v46, s7, v11
	v_add_f16_e32 v9, v10, v9
	v_fma_f16 v10, v49, s6, v50
	v_add_f16_e32 v65, v66, v65
	v_add_f16_e32 v11, v11, v13
	v_fma_f16 v13, v49, s0, v51
	v_add_f16_e32 v9, v10, v9
	v_mul_u32_u24_e32 v10, 40, v2
	v_add_f16_e32 v11, v13, v11
	v_add3_u32 v10, v18, v10, v17
	v_pack_b32_f16 v13, v65, v64
	v_pack_b32_f16 v4, v55, v4
	ds_write2_b32 v10, v4, v13 offset1:1
	v_pack_b32_f16 v4, v12, v31
	v_pack_b32_f16 v6, v58, v6
	ds_write2_b32 v10, v6, v4 offset0:2 offset1:3
	v_pack_b32_f16 v4, v54, v52
	v_pack_b32_f16 v6, v25, v21
	ds_write2_b32 v10, v6, v4 offset0:4 offset1:5
	;; [unrolled: 3-line block ×4, first 2 shown]
	v_pack_b32_f16 v4, v9, v8
	ds_write_b32 v10, v4 offset:40
.LBB0_12:
	s_or_b64 exec, exec, s[2:3]
	v_mul_u32_u24_e32 v4, 7, v2
	v_lshlrev_b32_e32 v11, 2, v4
	s_waitcnt lgkmcnt(0)
	s_barrier
	global_load_dwordx4 v[4:7], v11, s[4:5]
	global_load_dwordx3 v[8:10], v11, s[4:5] offset:16
	ds_read2_b32 v[12:13], v16 offset0:11 offset1:22
	ds_read_b32 v11, v14
	ds_read_u16 v17, v16 offset:266
	ds_read_b32 v22, v16 offset:308
	ds_read2_b32 v[18:19], v16 offset0:33 offset1:44
	ds_read2_b32 v[20:21], v16 offset0:55 offset1:66
	s_waitcnt lgkmcnt(5)
	v_lshrrev_b32_e32 v24, 16, v12
	v_lshrrev_b32_e32 v25, 16, v13
	s_waitcnt lgkmcnt(2)
	v_lshrrev_b32_e32 v23, 16, v22
	s_waitcnt lgkmcnt(1)
	v_lshrrev_b32_e32 v26, 16, v18
	v_lshrrev_b32_e32 v27, 16, v19
	s_waitcnt lgkmcnt(0)
	v_lshrrev_b32_e32 v28, 16, v20
	v_lshrrev_b32_e32 v29, 16, v11
	s_mov_b32 s0, 0xb9a8
	s_movk_i32 s1, 0x39a8
	s_barrier
	s_waitcnt vmcnt(1)
	v_mul_f16_sdwa v30, v4, v24 dst_sel:DWORD dst_unused:UNUSED_PAD src0_sel:WORD_1 src1_sel:DWORD
	v_mul_f16_sdwa v31, v4, v12 dst_sel:DWORD dst_unused:UNUSED_PAD src0_sel:WORD_1 src1_sel:DWORD
	;; [unrolled: 1-line block ×8, first 2 shown]
	s_waitcnt vmcnt(0)
	v_mul_f16_sdwa v38, v8, v28 dst_sel:DWORD dst_unused:UNUSED_PAD src0_sel:WORD_1 src1_sel:DWORD
	v_mul_f16_sdwa v39, v8, v20 dst_sel:DWORD dst_unused:UNUSED_PAD src0_sel:WORD_1 src1_sel:DWORD
	v_mul_f16_sdwa v40, v17, v9 dst_sel:DWORD dst_unused:UNUSED_PAD src0_sel:DWORD src1_sel:WORD_1
	v_mul_f16_sdwa v41, v9, v21 dst_sel:DWORD dst_unused:UNUSED_PAD src0_sel:WORD_1 src1_sel:DWORD
	v_mul_f16_sdwa v42, v23, v10 dst_sel:DWORD dst_unused:UNUSED_PAD src0_sel:DWORD src1_sel:WORD_1
	v_mul_f16_sdwa v43, v22, v10 dst_sel:DWORD dst_unused:UNUSED_PAD src0_sel:DWORD src1_sel:WORD_1
	v_fma_f16 v12, v4, v12, -v30
	v_fma_f16 v4, v4, v24, v31
	v_fma_f16 v13, v5, v13, -v32
	v_fma_f16 v5, v5, v25, v33
	;; [unrolled: 2-line block ×7, first 2 shown]
	v_sub_f16_e32 v19, v11, v19
	v_sub_f16_e32 v7, v29, v7
	;; [unrolled: 1-line block ×8, first 2 shown]
	v_fma_f16 v11, v11, 2.0, -v19
	v_fma_f16 v22, v29, 2.0, -v7
	;; [unrolled: 1-line block ×8, first 2 shown]
	v_sub_f16_e32 v9, v19, v9
	v_add_f16_e32 v21, v7, v21
	v_sub_f16_e32 v10, v20, v10
	v_add_f16_e32 v17, v8, v17
	v_sub_f16_e32 v13, v11, v13
	v_sub_f16_e32 v5, v22, v5
	v_fma_f16 v19, v19, 2.0, -v9
	v_fma_f16 v7, v7, 2.0, -v21
	v_sub_f16_e32 v18, v12, v18
	v_sub_f16_e32 v6, v4, v6
	v_fma_f16 v20, v20, 2.0, -v10
	v_fma_f16 v8, v8, 2.0, -v17
	;; [unrolled: 1-line block ×6, first 2 shown]
	v_fma_f16 v23, v20, s0, v19
	v_fma_f16 v24, v8, s0, v7
	v_sub_f16_e32 v12, v11, v12
	v_sub_f16_e32 v4, v22, v4
	v_fma_f16 v8, v8, s0, v23
	v_fma_f16 v20, v20, s1, v24
	;; [unrolled: 1-line block ×4, first 2 shown]
	v_fma_f16 v11, v11, 2.0, -v12
	v_fma_f16 v22, v22, 2.0, -v4
	;; [unrolled: 1-line block ×4, first 2 shown]
	v_sub_f16_e32 v6, v13, v6
	v_add_f16_e32 v18, v5, v18
	v_fma_f16 v17, v17, s0, v23
	v_fma_f16 v10, v10, s1, v24
	v_fma_f16 v13, v13, 2.0, -v6
	v_fma_f16 v5, v5, 2.0, -v18
	;; [unrolled: 1-line block ×4, first 2 shown]
	v_pack_b32_f16 v11, v11, v22
	v_pack_b32_f16 v7, v19, v7
	ds_write2_b32 v16, v11, v7 offset1:11
	v_pack_b32_f16 v5, v13, v5
	v_pack_b32_f16 v7, v9, v21
	ds_write2_b32 v16, v5, v7 offset0:22 offset1:33
	v_pack_b32_f16 v4, v12, v4
	v_pack_b32_f16 v5, v8, v20
	ds_write2_b32 v16, v4, v5 offset0:44 offset1:55
	;; [unrolled: 3-line block ×3, first 2 shown]
	s_waitcnt lgkmcnt(0)
	s_barrier
	ds_read_b32 v10, v14
	v_sub_u32_e32 v6, v3, v15
	v_cmp_ne_u32_e64 s[0:1], 0, v2
                                        ; implicit-def: $vgpr8
                                        ; implicit-def: $vgpr7
                                        ; implicit-def: $vgpr9
                                        ; implicit-def: $vgpr4_vgpr5
	s_and_saveexec_b64 s[2:3], s[0:1]
	s_xor_b64 s[0:1], exec, s[2:3]
	s_cbranch_execz .LBB0_14
; %bb.13:
	v_mov_b32_e32 v3, 0
	v_lshl_add_u64 v[4:5], v[2:3], 2, s[4:5]
	global_load_dword v4, v[4:5], off offset:308
	ds_read_b32 v5, v6 offset:352
	s_mov_b32 s2, 0xffff
	s_waitcnt lgkmcnt(0)
	v_pk_add_f16 v7, v10, v5 neg_lo:[0,1] neg_hi:[0,1]
	v_pk_add_f16 v5, v5, v10
	s_nop 0
	v_bfi_b32 v8, s2, v7, v5
	v_bfi_b32 v5, s2, v5, v7
	v_pk_mul_f16 v7, v8, 0.5 op_sel_hi:[1,0]
	v_pk_mul_f16 v8, v5, 0.5 op_sel_hi:[1,0]
	s_waitcnt vmcnt(0)
	v_pk_mul_f16 v9, v4, v7 op_sel:[1,0]
	v_pk_mul_f16 v4, v4, v7 op_sel_hi:[0,1]
	v_pk_fma_f16 v5, v5, 0.5, v9 op_sel_hi:[1,0,1]
	v_sub_f16_e32 v7, v8, v9
	v_sub_f16_sdwa v8, v9, v8 dst_sel:DWORD dst_unused:UNUSED_PAD src0_sel:WORD_1 src1_sel:WORD_1
	v_pk_add_f16 v10, v5, v4 op_sel:[0,1] op_sel_hi:[1,0]
	v_pk_add_f16 v5, v5, v4 op_sel:[0,1] op_sel_hi:[1,0] neg_lo:[0,1] neg_hi:[0,1]
	v_sub_f16_sdwa v7, v7, v4 dst_sel:DWORD dst_unused:UNUSED_PAD src0_sel:DWORD src1_sel:WORD_1
	v_sub_f16_e32 v9, v8, v4
	v_bfi_b32 v8, s2, v10, v5
	v_mov_b64_e32 v[4:5], v[2:3]
                                        ; implicit-def: $vgpr10
                                        ; implicit-def: $vgpr3
.LBB0_14:
	s_andn2_saveexec_b64 s[0:1], s[0:1]
	s_cbranch_execz .LBB0_16
; %bb.15:
	ds_read_u16 v4, v3 offset:178
	s_waitcnt lgkmcnt(1)
	v_alignbit_b32 v5, s0, v10, 16
	v_pk_add_f16 v5, v5, v10
	v_sub_f16_sdwa v7, v10, v10 dst_sel:DWORD dst_unused:UNUSED_PAD src0_sel:DWORD src1_sel:WORD_1
	v_pack_b32_f16 v8, v5, 0
	s_waitcnt lgkmcnt(0)
	v_xor_b32_e32 v4, 0x8000, v4
	ds_write_b16 v3, v4 offset:178
	v_mov_b64_e32 v[4:5], 0
	v_mov_b32_e32 v9, 0
.LBB0_16:
	s_or_b64 exec, exec, s[0:1]
	s_add_u32 s0, s4, 0x134
	s_addc_u32 s1, s5, 0
	s_waitcnt lgkmcnt(0)
	v_lshl_add_u64 v[10:11], v[4:5], 2, s[0:1]
	global_load_dword v3, v[10:11], off offset:44
	global_load_dword v12, v[10:11], off offset:88
	;; [unrolled: 1-line block ×3, first 2 shown]
	ds_write_b16 v6, v9 offset:354
	ds_write_b32 v14, v8
	ds_write_b16 v6, v7 offset:352
	ds_read_b32 v7, v14 offset:44
	ds_read_b32 v8, v6 offset:308
	s_mov_b32 s0, 0xffff
	s_waitcnt lgkmcnt(0)
	v_pk_add_f16 v9, v7, v8 neg_lo:[0,1] neg_hi:[0,1]
	v_pk_add_f16 v7, v7, v8
	s_nop 0
	v_bfi_b32 v8, s0, v9, v7
	v_bfi_b32 v7, s0, v7, v9
	v_pk_mul_f16 v8, v8, 0.5 op_sel_hi:[1,0]
	v_pk_mul_f16 v7, v7, 0.5 op_sel_hi:[1,0]
	s_waitcnt vmcnt(2)
	v_pk_mul_f16 v10, v3, v8 op_sel_hi:[0,1]
	v_pk_fma_f16 v9, v3, v8, v7 op_sel:[1,0,0]
	v_pk_fma_f16 v11, v3, v8, v7 op_sel:[1,0,0] neg_lo:[1,0,0] neg_hi:[1,0,0]
	v_pk_fma_f16 v3, v3, v8, v7 op_sel:[1,0,0] neg_lo:[0,0,1] neg_hi:[0,0,1]
	v_pk_add_f16 v7, v9, v10 op_sel:[0,1] op_sel_hi:[1,0]
	v_pk_add_f16 v8, v9, v10 op_sel:[0,1] op_sel_hi:[1,0] neg_lo:[0,1] neg_hi:[0,1]
	v_pk_add_f16 v9, v11, v10 op_sel:[0,1] op_sel_hi:[1,0] neg_lo:[0,1] neg_hi:[0,1]
	;; [unrolled: 1-line block ×3, first 2 shown]
	v_bfi_b32 v7, s0, v7, v8
	v_bfi_b32 v3, s0, v9, v3
	ds_write_b32 v14, v7 offset:44
	ds_write_b32 v6, v3 offset:308
	ds_read_b32 v3, v14 offset:88
	ds_read_b32 v7, v6 offset:264
	s_waitcnt lgkmcnt(0)
	v_pk_add_f16 v8, v3, v7 neg_lo:[0,1] neg_hi:[0,1]
	v_pk_add_f16 v3, v3, v7
	s_nop 0
	v_bfi_b32 v7, s0, v8, v3
	v_bfi_b32 v3, s0, v3, v8
	v_pk_mul_f16 v7, v7, 0.5 op_sel_hi:[1,0]
	v_pk_mul_f16 v3, v3, 0.5 op_sel_hi:[1,0]
	s_waitcnt vmcnt(1)
	v_pk_mul_f16 v9, v12, v7 op_sel_hi:[0,1]
	v_pk_fma_f16 v8, v12, v7, v3 op_sel:[1,0,0]
	v_pk_fma_f16 v10, v12, v7, v3 op_sel:[1,0,0] neg_lo:[1,0,0] neg_hi:[1,0,0]
	v_pk_fma_f16 v3, v12, v7, v3 op_sel:[1,0,0] neg_lo:[0,0,1] neg_hi:[0,0,1]
	v_pk_add_f16 v7, v8, v9 op_sel:[0,1] op_sel_hi:[1,0]
	v_pk_add_f16 v8, v8, v9 op_sel:[0,1] op_sel_hi:[1,0] neg_lo:[0,1] neg_hi:[0,1]
	v_pk_add_f16 v10, v10, v9 op_sel:[0,1] op_sel_hi:[1,0] neg_lo:[0,1] neg_hi:[0,1]
	;; [unrolled: 1-line block ×3, first 2 shown]
	v_bfi_b32 v7, s0, v7, v8
	v_bfi_b32 v3, s0, v10, v3
	ds_write_b32 v14, v7 offset:88
	ds_write_b32 v6, v3 offset:264
	ds_read_b32 v3, v14 offset:132
	ds_read_b32 v7, v6 offset:220
	s_waitcnt lgkmcnt(0)
	v_pk_add_f16 v8, v3, v7 neg_lo:[0,1] neg_hi:[0,1]
	v_pk_add_f16 v3, v3, v7
	s_nop 0
	v_bfi_b32 v7, s0, v8, v3
	v_bfi_b32 v3, s0, v3, v8
	v_pk_mul_f16 v7, v7, 0.5 op_sel_hi:[1,0]
	v_pk_mul_f16 v3, v3, 0.5 op_sel_hi:[1,0]
	s_waitcnt vmcnt(0)
	v_pk_mul_f16 v9, v13, v7 op_sel_hi:[0,1]
	v_pk_fma_f16 v8, v13, v7, v3 op_sel:[1,0,0]
	v_pk_fma_f16 v10, v13, v7, v3 op_sel:[1,0,0] neg_lo:[1,0,0] neg_hi:[1,0,0]
	v_pk_fma_f16 v3, v13, v7, v3 op_sel:[1,0,0] neg_lo:[0,0,1] neg_hi:[0,0,1]
	v_pk_add_f16 v7, v8, v9 op_sel:[0,1] op_sel_hi:[1,0]
	v_pk_add_f16 v8, v8, v9 op_sel:[0,1] op_sel_hi:[1,0] neg_lo:[0,1] neg_hi:[0,1]
	v_pk_add_f16 v10, v10, v9 op_sel:[0,1] op_sel_hi:[1,0] neg_lo:[0,1] neg_hi:[0,1]
	v_pk_add_f16 v3, v3, v9 op_sel:[0,1] op_sel_hi:[1,0] neg_lo:[0,1] neg_hi:[0,1]
	v_bfi_b32 v7, s0, v7, v8
	v_bfi_b32 v3, s0, v10, v3
	ds_write_b32 v14, v7 offset:132
	ds_write_b32 v6, v3 offset:220
	s_waitcnt lgkmcnt(0)
	s_barrier
	s_and_saveexec_b64 s[0:1], vcc
	s_cbranch_execz .LBB0_19
; %bb.17:
	ds_read2_b32 v[6:7], v14 offset1:11
	ds_read2_b32 v[8:9], v14 offset0:22 offset1:33
	ds_read2_b32 v[10:11], v14 offset0:44 offset1:55
	v_lshl_add_u64 v[4:5], v[4:5], 2, v[0:1]
	v_cmp_eq_u32_e32 vcc, 10, v2
	s_waitcnt lgkmcnt(2)
	global_store_dword v[4:5], v6, off
	global_store_dword v[4:5], v7, off offset:44
	ds_read2_b32 v[6:7], v14 offset0:66 offset1:77
	s_waitcnt lgkmcnt(2)
	global_store_dword v[4:5], v8, off offset:88
	global_store_dword v[4:5], v9, off offset:132
	s_waitcnt lgkmcnt(1)
	global_store_dword v[4:5], v10, off offset:176
	global_store_dword v[4:5], v11, off offset:220
	;; [unrolled: 3-line block ×3, first 2 shown]
	s_and_b64 exec, exec, vcc
	s_cbranch_execz .LBB0_19
; %bb.18:
	ds_read_b32 v2, v14 offset:312
	s_waitcnt lgkmcnt(0)
	global_store_dword v[0:1], v2, off offset:352
.LBB0_19:
	s_endpgm
	.section	.rodata,"a",@progbits
	.p2align	6, 0x0
	.amdhsa_kernel fft_rtc_fwd_len88_factors_11_8_wgs_121_tpt_11_halfLds_half_ip_CI_unitstride_sbrr_R2C_dirReg
		.amdhsa_group_segment_fixed_size 0
		.amdhsa_private_segment_fixed_size 0
		.amdhsa_kernarg_size 88
		.amdhsa_user_sgpr_count 2
		.amdhsa_user_sgpr_dispatch_ptr 0
		.amdhsa_user_sgpr_queue_ptr 0
		.amdhsa_user_sgpr_kernarg_segment_ptr 1
		.amdhsa_user_sgpr_dispatch_id 0
		.amdhsa_user_sgpr_kernarg_preload_length 0
		.amdhsa_user_sgpr_kernarg_preload_offset 0
		.amdhsa_user_sgpr_private_segment_size 0
		.amdhsa_uses_dynamic_stack 0
		.amdhsa_enable_private_segment 0
		.amdhsa_system_sgpr_workgroup_id_x 1
		.amdhsa_system_sgpr_workgroup_id_y 0
		.amdhsa_system_sgpr_workgroup_id_z 0
		.amdhsa_system_sgpr_workgroup_info 0
		.amdhsa_system_vgpr_workitem_id 0
		.amdhsa_next_free_vgpr 67
		.amdhsa_next_free_sgpr 22
		.amdhsa_accum_offset 68
		.amdhsa_reserve_vcc 1
		.amdhsa_float_round_mode_32 0
		.amdhsa_float_round_mode_16_64 0
		.amdhsa_float_denorm_mode_32 3
		.amdhsa_float_denorm_mode_16_64 3
		.amdhsa_dx10_clamp 1
		.amdhsa_ieee_mode 1
		.amdhsa_fp16_overflow 0
		.amdhsa_tg_split 0
		.amdhsa_exception_fp_ieee_invalid_op 0
		.amdhsa_exception_fp_denorm_src 0
		.amdhsa_exception_fp_ieee_div_zero 0
		.amdhsa_exception_fp_ieee_overflow 0
		.amdhsa_exception_fp_ieee_underflow 0
		.amdhsa_exception_fp_ieee_inexact 0
		.amdhsa_exception_int_div_zero 0
	.end_amdhsa_kernel
	.text
.Lfunc_end0:
	.size	fft_rtc_fwd_len88_factors_11_8_wgs_121_tpt_11_halfLds_half_ip_CI_unitstride_sbrr_R2C_dirReg, .Lfunc_end0-fft_rtc_fwd_len88_factors_11_8_wgs_121_tpt_11_halfLds_half_ip_CI_unitstride_sbrr_R2C_dirReg
                                        ; -- End function
	.section	.AMDGPU.csdata,"",@progbits
; Kernel info:
; codeLenInByte = 5472
; NumSgprs: 28
; NumVgprs: 67
; NumAgprs: 0
; TotalNumVgprs: 67
; ScratchSize: 0
; MemoryBound: 0
; FloatMode: 240
; IeeeMode: 1
; LDSByteSize: 0 bytes/workgroup (compile time only)
; SGPRBlocks: 3
; VGPRBlocks: 8
; NumSGPRsForWavesPerEU: 28
; NumVGPRsForWavesPerEU: 67
; AccumOffset: 68
; Occupancy: 7
; WaveLimiterHint : 1
; COMPUTE_PGM_RSRC2:SCRATCH_EN: 0
; COMPUTE_PGM_RSRC2:USER_SGPR: 2
; COMPUTE_PGM_RSRC2:TRAP_HANDLER: 0
; COMPUTE_PGM_RSRC2:TGID_X_EN: 1
; COMPUTE_PGM_RSRC2:TGID_Y_EN: 0
; COMPUTE_PGM_RSRC2:TGID_Z_EN: 0
; COMPUTE_PGM_RSRC2:TIDIG_COMP_CNT: 0
; COMPUTE_PGM_RSRC3_GFX90A:ACCUM_OFFSET: 16
; COMPUTE_PGM_RSRC3_GFX90A:TG_SPLIT: 0
	.text
	.p2alignl 6, 3212836864
	.fill 256, 4, 3212836864
	.type	__hip_cuid_7c5dacb37b6f697b,@object ; @__hip_cuid_7c5dacb37b6f697b
	.section	.bss,"aw",@nobits
	.globl	__hip_cuid_7c5dacb37b6f697b
__hip_cuid_7c5dacb37b6f697b:
	.byte	0                               ; 0x0
	.size	__hip_cuid_7c5dacb37b6f697b, 1

	.ident	"AMD clang version 19.0.0git (https://github.com/RadeonOpenCompute/llvm-project roc-6.4.0 25133 c7fe45cf4b819c5991fe208aaa96edf142730f1d)"
	.section	".note.GNU-stack","",@progbits
	.addrsig
	.addrsig_sym __hip_cuid_7c5dacb37b6f697b
	.amdgpu_metadata
---
amdhsa.kernels:
  - .agpr_count:     0
    .args:
      - .actual_access:  read_only
        .address_space:  global
        .offset:         0
        .size:           8
        .value_kind:     global_buffer
      - .offset:         8
        .size:           8
        .value_kind:     by_value
      - .actual_access:  read_only
        .address_space:  global
        .offset:         16
        .size:           8
        .value_kind:     global_buffer
      - .actual_access:  read_only
        .address_space:  global
        .offset:         24
        .size:           8
        .value_kind:     global_buffer
      - .offset:         32
        .size:           8
        .value_kind:     by_value
      - .actual_access:  read_only
        .address_space:  global
        .offset:         40
        .size:           8
        .value_kind:     global_buffer
      - .actual_access:  read_only
        .address_space:  global
        .offset:         48
        .size:           8
        .value_kind:     global_buffer
      - .offset:         56
        .size:           4
        .value_kind:     by_value
      - .actual_access:  read_only
        .address_space:  global
        .offset:         64
        .size:           8
        .value_kind:     global_buffer
      - .actual_access:  read_only
        .address_space:  global
        .offset:         72
        .size:           8
        .value_kind:     global_buffer
      - .address_space:  global
        .offset:         80
        .size:           8
        .value_kind:     global_buffer
    .group_segment_fixed_size: 0
    .kernarg_segment_align: 8
    .kernarg_segment_size: 88
    .language:       OpenCL C
    .language_version:
      - 2
      - 0
    .max_flat_workgroup_size: 121
    .name:           fft_rtc_fwd_len88_factors_11_8_wgs_121_tpt_11_halfLds_half_ip_CI_unitstride_sbrr_R2C_dirReg
    .private_segment_fixed_size: 0
    .sgpr_count:     28
    .sgpr_spill_count: 0
    .symbol:         fft_rtc_fwd_len88_factors_11_8_wgs_121_tpt_11_halfLds_half_ip_CI_unitstride_sbrr_R2C_dirReg.kd
    .uniform_work_group_size: 1
    .uses_dynamic_stack: false
    .vgpr_count:     67
    .vgpr_spill_count: 0
    .wavefront_size: 64
amdhsa.target:   amdgcn-amd-amdhsa--gfx950
amdhsa.version:
  - 1
  - 2
...

	.end_amdgpu_metadata
